;; amdgpu-corpus repo=ROCm/rocFFT kind=compiled arch=gfx906 opt=O3
	.text
	.amdgcn_target "amdgcn-amd-amdhsa--gfx906"
	.amdhsa_code_object_version 6
	.protected	fft_rtc_back_len99_factors_3_3_11_wgs_220_tpt_11_half_op_CI_CI_sbrr_dirReg ; -- Begin function fft_rtc_back_len99_factors_3_3_11_wgs_220_tpt_11_half_op_CI_CI_sbrr_dirReg
	.globl	fft_rtc_back_len99_factors_3_3_11_wgs_220_tpt_11_half_op_CI_CI_sbrr_dirReg
	.p2align	8
	.type	fft_rtc_back_len99_factors_3_3_11_wgs_220_tpt_11_half_op_CI_CI_sbrr_dirReg,@function
fft_rtc_back_len99_factors_3_3_11_wgs_220_tpt_11_half_op_CI_CI_sbrr_dirReg: ; @fft_rtc_back_len99_factors_3_3_11_wgs_220_tpt_11_half_op_CI_CI_sbrr_dirReg
; %bb.0:
	s_load_dwordx4 s[16:19], s[4:5], 0x18
	s_load_dwordx4 s[12:15], s[4:5], 0x0
	;; [unrolled: 1-line block ×3, first 2 shown]
	v_mul_u32_u24_e32 v1, 0x1746, v0
	v_lshrrev_b32_e32 v1, 16, v1
	v_mad_u64_u32 v[5:6], s[0:1], s6, 20, v[1:2]
	s_waitcnt lgkmcnt(0)
	s_load_dwordx2 s[2:3], s[16:17], 0x0
	s_load_dwordx2 s[20:21], s[18:19], 0x0
	v_mov_b32_e32 v9, 0
	v_cmp_lt_u64_e64 s[0:1], s[14:15], 2
	v_mov_b32_e32 v7, 0
	v_mov_b32_e32 v6, v9
	;; [unrolled: 1-line block ×5, first 2 shown]
	s_and_b64 vcc, exec, s[0:1]
	v_mov_b32_e32 v2, v8
	v_mov_b32_e32 v4, v6
	s_cbranch_vccnz .LBB0_8
; %bb.1:
	s_load_dwordx2 s[0:1], s[4:5], 0x10
	s_add_u32 s6, s18, 8
	s_addc_u32 s7, s19, 0
	s_add_u32 s22, s16, 8
	s_addc_u32 s23, s17, 0
	v_mov_b32_e32 v7, 0
	s_waitcnt lgkmcnt(0)
	s_add_u32 s24, s0, 8
	v_mov_b32_e32 v8, 0
	v_mov_b32_e32 v1, v7
	;; [unrolled: 1-line block ×3, first 2 shown]
	s_addc_u32 s25, s1, 0
	s_mov_b64 s[26:27], 1
	v_mov_b32_e32 v2, v8
	v_mov_b32_e32 v11, v5
.LBB0_2:                                ; =>This Inner Loop Header: Depth=1
	s_load_dwordx2 s[28:29], s[24:25], 0x0
                                        ; implicit-def: $vgpr3_vgpr4
	s_waitcnt lgkmcnt(0)
	v_or_b32_e32 v10, s29, v12
	v_cmp_ne_u64_e32 vcc, 0, v[9:10]
	s_and_saveexec_b64 s[0:1], vcc
	s_xor_b64 s[30:31], exec, s[0:1]
	s_cbranch_execz .LBB0_4
; %bb.3:                                ;   in Loop: Header=BB0_2 Depth=1
	v_cvt_f32_u32_e32 v3, s28
	v_cvt_f32_u32_e32 v4, s29
	s_sub_u32 s0, 0, s28
	s_subb_u32 s1, 0, s29
	v_mac_f32_e32 v3, 0x4f800000, v4
	v_rcp_f32_e32 v3, v3
	v_mul_f32_e32 v3, 0x5f7ffffc, v3
	v_mul_f32_e32 v4, 0x2f800000, v3
	v_trunc_f32_e32 v4, v4
	v_mac_f32_e32 v3, 0xcf800000, v4
	v_cvt_u32_f32_e32 v4, v4
	v_cvt_u32_f32_e32 v3, v3
	v_mul_lo_u32 v6, s0, v4
	v_mul_hi_u32 v10, s0, v3
	v_mul_lo_u32 v14, s1, v3
	v_mul_lo_u32 v13, s0, v3
	v_add_u32_e32 v6, v10, v6
	v_add_u32_e32 v6, v6, v14
	v_mul_hi_u32 v10, v3, v13
	v_mul_lo_u32 v14, v3, v6
	v_mul_hi_u32 v16, v3, v6
	v_mul_hi_u32 v15, v4, v13
	v_mul_lo_u32 v13, v4, v13
	v_mul_hi_u32 v17, v4, v6
	v_add_co_u32_e32 v10, vcc, v10, v14
	v_addc_co_u32_e32 v14, vcc, 0, v16, vcc
	v_mul_lo_u32 v6, v4, v6
	v_add_co_u32_e32 v10, vcc, v10, v13
	v_addc_co_u32_e32 v10, vcc, v14, v15, vcc
	v_addc_co_u32_e32 v13, vcc, 0, v17, vcc
	v_add_co_u32_e32 v6, vcc, v10, v6
	v_addc_co_u32_e32 v10, vcc, 0, v13, vcc
	v_add_co_u32_e32 v3, vcc, v3, v6
	v_addc_co_u32_e32 v4, vcc, v4, v10, vcc
	v_mul_lo_u32 v6, s0, v4
	v_mul_hi_u32 v10, s0, v3
	v_mul_lo_u32 v13, s1, v3
	v_mul_lo_u32 v14, s0, v3
	v_add_u32_e32 v6, v10, v6
	v_add_u32_e32 v6, v6, v13
	v_mul_lo_u32 v15, v3, v6
	v_mul_hi_u32 v16, v3, v14
	v_mul_hi_u32 v17, v3, v6
	;; [unrolled: 1-line block ×3, first 2 shown]
	v_mul_lo_u32 v14, v4, v14
	v_mul_hi_u32 v10, v4, v6
	v_add_co_u32_e32 v15, vcc, v16, v15
	v_addc_co_u32_e32 v16, vcc, 0, v17, vcc
	v_mul_lo_u32 v6, v4, v6
	v_add_co_u32_e32 v14, vcc, v15, v14
	v_addc_co_u32_e32 v13, vcc, v16, v13, vcc
	v_addc_co_u32_e32 v10, vcc, 0, v10, vcc
	v_add_co_u32_e32 v6, vcc, v13, v6
	v_addc_co_u32_e32 v10, vcc, 0, v10, vcc
	v_add_co_u32_e32 v6, vcc, v3, v6
	v_addc_co_u32_e32 v10, vcc, v4, v10, vcc
	v_mad_u64_u32 v[3:4], s[0:1], v11, v10, 0
	v_mul_hi_u32 v13, v11, v6
	v_add_co_u32_e32 v15, vcc, v13, v3
	v_addc_co_u32_e32 v16, vcc, 0, v4, vcc
	v_mad_u64_u32 v[3:4], s[0:1], v12, v6, 0
	v_mad_u64_u32 v[13:14], s[0:1], v12, v10, 0
	v_add_co_u32_e32 v3, vcc, v15, v3
	v_addc_co_u32_e32 v3, vcc, v16, v4, vcc
	v_addc_co_u32_e32 v4, vcc, 0, v14, vcc
	v_add_co_u32_e32 v6, vcc, v3, v13
	v_addc_co_u32_e32 v10, vcc, 0, v4, vcc
	v_mul_lo_u32 v13, s29, v6
	v_mul_lo_u32 v14, s28, v10
	v_mad_u64_u32 v[3:4], s[0:1], s28, v6, 0
	v_add3_u32 v4, v4, v14, v13
	v_sub_u32_e32 v13, v12, v4
	v_mov_b32_e32 v14, s29
	v_sub_co_u32_e32 v3, vcc, v11, v3
	v_subb_co_u32_e64 v13, s[0:1], v13, v14, vcc
	v_subrev_co_u32_e64 v14, s[0:1], s28, v3
	v_subbrev_co_u32_e64 v13, s[0:1], 0, v13, s[0:1]
	v_cmp_le_u32_e64 s[0:1], s29, v13
	v_cndmask_b32_e64 v15, 0, -1, s[0:1]
	v_cmp_le_u32_e64 s[0:1], s28, v14
	v_cndmask_b32_e64 v14, 0, -1, s[0:1]
	v_cmp_eq_u32_e64 s[0:1], s29, v13
	v_cndmask_b32_e64 v13, v15, v14, s[0:1]
	v_add_co_u32_e64 v14, s[0:1], 2, v6
	v_addc_co_u32_e64 v15, s[0:1], 0, v10, s[0:1]
	v_add_co_u32_e64 v16, s[0:1], 1, v6
	v_addc_co_u32_e64 v17, s[0:1], 0, v10, s[0:1]
	v_subb_co_u32_e32 v4, vcc, v12, v4, vcc
	v_cmp_ne_u32_e64 s[0:1], 0, v13
	v_cmp_le_u32_e32 vcc, s29, v4
	v_cndmask_b32_e64 v13, v17, v15, s[0:1]
	v_cndmask_b32_e64 v15, 0, -1, vcc
	v_cmp_le_u32_e32 vcc, s28, v3
	v_cndmask_b32_e64 v3, 0, -1, vcc
	v_cmp_eq_u32_e32 vcc, s29, v4
	v_cndmask_b32_e32 v3, v15, v3, vcc
	v_cmp_ne_u32_e32 vcc, 0, v3
	v_cndmask_b32_e64 v3, v16, v14, s[0:1]
	v_cndmask_b32_e32 v4, v10, v13, vcc
	v_cndmask_b32_e32 v3, v6, v3, vcc
.LBB0_4:                                ;   in Loop: Header=BB0_2 Depth=1
	s_andn2_saveexec_b64 s[0:1], s[30:31]
	s_cbranch_execz .LBB0_6
; %bb.5:                                ;   in Loop: Header=BB0_2 Depth=1
	v_cvt_f32_u32_e32 v3, s28
	s_sub_i32 s30, 0, s28
	v_rcp_iflag_f32_e32 v3, v3
	v_mul_f32_e32 v3, 0x4f7ffffe, v3
	v_cvt_u32_f32_e32 v3, v3
	v_mul_lo_u32 v4, s30, v3
	v_mul_hi_u32 v4, v3, v4
	v_add_u32_e32 v3, v3, v4
	v_mul_hi_u32 v3, v11, v3
	v_mul_lo_u32 v4, v3, s28
	v_add_u32_e32 v6, 1, v3
	v_sub_u32_e32 v4, v11, v4
	v_subrev_u32_e32 v10, s28, v4
	v_cmp_le_u32_e32 vcc, s28, v4
	v_cndmask_b32_e32 v4, v4, v10, vcc
	v_cndmask_b32_e32 v3, v3, v6, vcc
	v_add_u32_e32 v6, 1, v3
	v_cmp_le_u32_e32 vcc, s28, v4
	v_cndmask_b32_e32 v3, v3, v6, vcc
	v_mov_b32_e32 v4, v9
.LBB0_6:                                ;   in Loop: Header=BB0_2 Depth=1
	s_or_b64 exec, exec, s[0:1]
	v_mul_lo_u32 v6, v4, s28
	v_mul_lo_u32 v10, v3, s29
	v_mad_u64_u32 v[13:14], s[0:1], v3, s28, 0
	s_load_dwordx2 s[0:1], s[22:23], 0x0
	s_load_dwordx2 s[28:29], s[6:7], 0x0
	v_add3_u32 v6, v14, v10, v6
	v_sub_co_u32_e32 v10, vcc, v11, v13
	v_subb_co_u32_e32 v6, vcc, v12, v6, vcc
	s_waitcnt lgkmcnt(0)
	v_mul_lo_u32 v11, s0, v6
	v_mul_lo_u32 v12, s1, v10
	v_mad_u64_u32 v[7:8], s[0:1], s0, v10, v[7:8]
	s_add_u32 s26, s26, 1
	s_addc_u32 s27, s27, 0
	s_add_u32 s6, s6, 8
	v_mul_lo_u32 v6, s28, v6
	v_mul_lo_u32 v13, s29, v10
	v_mad_u64_u32 v[1:2], s[0:1], s28, v10, v[1:2]
	v_add3_u32 v8, v12, v8, v11
	s_addc_u32 s7, s7, 0
	v_mov_b32_e32 v10, s14
	s_add_u32 s22, s22, 8
	v_mov_b32_e32 v11, s15
	s_addc_u32 s23, s23, 0
	v_cmp_ge_u64_e32 vcc, s[26:27], v[10:11]
	s_add_u32 s24, s24, 8
	v_add3_u32 v2, v13, v2, v6
	s_addc_u32 s25, s25, 0
	s_cbranch_vccnz .LBB0_8
; %bb.7:                                ;   in Loop: Header=BB0_2 Depth=1
	v_mov_b32_e32 v12, v4
	v_mov_b32_e32 v11, v3
	s_branch .LBB0_2
.LBB0_8:
	s_load_dwordx2 s[0:1], s[4:5], 0x28
	s_lshl_b64 s[14:15], s[14:15], 3
	s_add_u32 s4, s18, s14
	s_addc_u32 s5, s19, s15
                                        ; implicit-def: $vgpr15
                                        ; implicit-def: $vgpr6
                                        ; implicit-def: $vgpr9
	s_waitcnt lgkmcnt(0)
	v_cmp_gt_u64_e32 vcc, s[0:1], v[3:4]
	v_cmp_le_u64_e64 s[0:1], s[0:1], v[3:4]
	s_and_saveexec_b64 s[6:7], s[0:1]
	s_xor_b64 s[0:1], exec, s[6:7]
; %bb.9:
	s_mov_b32 s6, 0x1745d175
	v_mul_hi_u32 v6, v0, s6
                                        ; implicit-def: $vgpr7_vgpr8
	v_mul_u32_u24_e32 v6, 11, v6
	v_sub_u32_e32 v15, v0, v6
	v_add_u32_e32 v6, 11, v15
	v_add_u32_e32 v9, 22, v15
                                        ; implicit-def: $vgpr0
; %bb.10:
	s_or_saveexec_b64 s[6:7], s[0:1]
                                        ; implicit-def: $vgpr10
                                        ; implicit-def: $vgpr11
                                        ; implicit-def: $vgpr12
                                        ; implicit-def: $vgpr13
                                        ; implicit-def: $vgpr14
                                        ; implicit-def: $vgpr16
                                        ; implicit-def: $vgpr17
                                        ; implicit-def: $vgpr18
                                        ; implicit-def: $vgpr19
	s_xor_b64 exec, exec, s[6:7]
	s_cbranch_execz .LBB0_12
; %bb.11:
	s_add_u32 s0, s16, s14
	s_mov_b32 s14, 0x1745d175
	v_mul_hi_u32 v6, v0, s14
	s_addc_u32 s1, s17, s15
	s_load_dwordx2 s[0:1], s[0:1], 0x0
	v_mul_u32_u24_e32 v6, 11, v6
	v_sub_u32_e32 v15, v0, v6
	v_mad_u64_u32 v[9:10], s[14:15], s2, v15, 0
	s_waitcnt lgkmcnt(0)
	v_mul_lo_u32 v6, s1, v3
	v_mul_lo_u32 v16, s0, v4
	v_mad_u64_u32 v[11:12], s[0:1], s0, v3, 0
	v_mov_b32_e32 v0, v10
	v_mad_u64_u32 v[13:14], s[0:1], s3, v15, v[0:1]
	v_add3_u32 v12, v12, v16, v6
	v_lshlrev_b64 v[11:12], 2, v[11:12]
	v_mov_b32_e32 v10, v13
	v_mov_b32_e32 v0, s9
	v_add_co_u32_e64 v13, s[0:1], s8, v11
	v_lshlrev_b64 v[6:7], 2, v[7:8]
	v_add_u32_e32 v8, 33, v15
	v_addc_co_u32_e64 v0, s[0:1], v0, v12, s[0:1]
	v_mad_u64_u32 v[11:12], s[0:1], s2, v8, 0
	v_add_co_u32_e64 v19, s[0:1], v13, v6
	v_addc_co_u32_e64 v35, s[0:1], v0, v7, s[0:1]
	v_mov_b32_e32 v0, v12
	v_lshlrev_b64 v[6:7], 2, v[9:10]
	v_mad_u64_u32 v[8:9], s[0:1], s3, v8, v[0:1]
	v_add_u32_e32 v13, 0x42, v15
	v_mad_u64_u32 v[9:10], s[0:1], s2, v13, 0
	v_add_co_u32_e64 v20, s[0:1], v19, v6
	v_mov_b32_e32 v12, v8
	v_mov_b32_e32 v0, v10
	v_addc_co_u32_e64 v21, s[0:1], v35, v7, s[0:1]
	v_lshlrev_b64 v[7:8], 2, v[11:12]
	v_mad_u64_u32 v[10:11], s[0:1], s3, v13, v[0:1]
	v_add_u32_e32 v6, 11, v15
	v_mad_u64_u32 v[11:12], s[0:1], s2, v6, 0
	v_add_co_u32_e64 v7, s[0:1], v19, v7
	v_mov_b32_e32 v0, v12
	v_addc_co_u32_e64 v8, s[0:1], v35, v8, s[0:1]
	v_mad_u64_u32 v[12:13], s[0:1], s3, v6, v[0:1]
	v_add_u32_e32 v16, 44, v15
	v_mad_u64_u32 v[13:14], s[0:1], s2, v16, 0
	v_lshlrev_b64 v[9:10], 2, v[9:10]
	v_add_co_u32_e64 v22, s[0:1], v19, v9
	v_mov_b32_e32 v0, v14
	v_addc_co_u32_e64 v23, s[0:1], v35, v10, s[0:1]
	v_lshlrev_b64 v[9:10], 2, v[11:12]
	v_mad_u64_u32 v[11:12], s[0:1], s3, v16, v[0:1]
	v_add_u32_e32 v12, 0x4d, v15
	v_mad_u64_u32 v[16:17], s[0:1], s2, v12, 0
	v_add_co_u32_e64 v24, s[0:1], v19, v9
	v_mov_b32_e32 v14, v11
	v_mov_b32_e32 v0, v17
	v_addc_co_u32_e64 v25, s[0:1], v35, v10, s[0:1]
	v_lshlrev_b64 v[10:11], 2, v[13:14]
	v_mad_u64_u32 v[12:13], s[0:1], s3, v12, v[0:1]
	v_add_u32_e32 v9, 22, v15
	v_mad_u64_u32 v[13:14], s[0:1], s2, v9, 0
	v_add_co_u32_e64 v26, s[0:1], v19, v10
	v_mov_b32_e32 v17, v12
	;; [unrolled: 8-line block ×4, first 2 shown]
	v_mov_b32_e32 v0, v14
	v_addc_co_u32_e64 v31, s[0:1], v35, v11, s[0:1]
	v_lshlrev_b64 v[10:11], 2, v[17:18]
	v_mad_u64_u32 v[16:17], s[0:1], s3, v16, v[0:1]
	v_add_co_u32_e64 v32, s[0:1], v19, v10
	v_mov_b32_e32 v14, v16
	v_addc_co_u32_e64 v33, s[0:1], v35, v11, s[0:1]
	v_lshlrev_b64 v[10:11], 2, v[13:14]
	v_add_co_u32_e64 v34, s[0:1], v19, v10
	v_addc_co_u32_e64 v35, s[0:1], v35, v11, s[0:1]
	global_load_dword v17, v[20:21], off
	global_load_dword v18, v[7:8], off
	;; [unrolled: 1-line block ×9, first 2 shown]
.LBB0_12:
	s_or_b64 exec, exec, s[6:7]
	s_mov_b32 s0, 0xcccccccd
	v_mul_hi_u32 v0, v5, s0
	s_waitcnt vmcnt(7)
	v_pk_add_f16 v7, v17, v18
	s_waitcnt vmcnt(6)
	v_pk_add_f16 v21, v18, v19
	v_pk_add_f16 v18, v18, v19 neg_lo:[0,1] neg_hi:[0,1]
	v_lshrrev_b32_e32 v0, 4, v0
	v_mul_lo_u32 v0, v0, 20
	s_movk_i32 s0, 0x3aee
	v_pk_fma_f16 v17, v21, 0.5, v17 op_sel_hi:[1,0,1] neg_lo:[1,0,0] neg_hi:[1,0,0]
	v_pk_mul_f16 v18, v18, s0 op_sel_hi:[1,0]
	v_sub_u32_e32 v0, v5, v0
	v_mul_u32_u24_e32 v0, 0x63, v0
	v_lshlrev_b32_e32 v24, 2, v0
	v_pk_add_f16 v7, v7, v19
	v_add_u32_e32 v0, 0, v24
	v_pk_add_f16 v19, v17, v18 op_sel:[0,1] op_sel_hi:[1,0] neg_lo:[0,1] neg_hi:[0,1]
	v_pk_add_f16 v17, v17, v18 op_sel:[0,1] op_sel_hi:[1,0]
	s_mov_b32 s1, 0xffff
	v_mad_u32_u24 v5, v15, 12, v0
	v_bfi_b32 v18, s1, v19, v17
	s_waitcnt vmcnt(4)
	v_pk_add_f16 v8, v13, v14
	ds_write2_b32 v5, v7, v18 offset1:1
	v_bfi_b32 v7, s1, v17, v19
	ds_write_b32 v5, v7 offset:8
	s_waitcnt vmcnt(3)
	v_pk_add_f16 v7, v8, v16
	v_pk_add_f16 v8, v14, v16
	v_pk_fma_f16 v8, v8, 0.5, v13 op_sel_hi:[1,0,1] neg_lo:[1,0,0] neg_hi:[1,0,0]
	v_pk_add_f16 v13, v14, v16 neg_lo:[0,1] neg_hi:[0,1]
	v_pk_mul_f16 v13, v13, s0 op_sel_hi:[1,0]
	v_pk_add_f16 v14, v8, v13 op_sel:[0,1] op_sel_hi:[1,0] neg_lo:[0,1] neg_hi:[0,1]
	v_pk_add_f16 v8, v8, v13 op_sel:[0,1] op_sel_hi:[1,0]
	v_mad_i32_i24 v21, v6, 12, v0
	v_bfi_b32 v13, s1, v14, v8
	s_waitcnt vmcnt(1)
	v_pk_add_f16 v20, v11, v12
	ds_write2_b32 v21, v7, v13 offset1:1
	v_bfi_b32 v7, s1, v8, v14
	ds_write_b32 v21, v7 offset:8
	s_waitcnt vmcnt(0)
	v_pk_add_f16 v7, v10, v20
	v_pk_add_f16 v8, v10, v11
	v_pk_add_f16 v10, v11, v10 neg_lo:[0,1] neg_hi:[0,1]
	v_pk_fma_f16 v8, v8, 0.5, v12 op_sel_hi:[1,0,1] neg_lo:[1,0,0] neg_hi:[1,0,0]
	v_pk_mul_f16 v10, v10, s0 op_sel_hi:[1,0]
	v_pk_add_f16 v11, v8, v10 op_sel:[0,1] op_sel_hi:[1,0] neg_lo:[0,1] neg_hi:[0,1]
	v_pk_add_f16 v8, v8, v10 op_sel:[0,1] op_sel_hi:[1,0]
	v_mad_i32_i24 v14, v9, 12, v0
	v_bfi_b32 v10, s1, v11, v8
	ds_write2_b32 v14, v7, v10 offset1:1
	v_bfi_b32 v7, s1, v8, v11
	s_movk_i32 s1, 0xab
	ds_write_b32 v14, v7 offset:8
	v_mul_lo_u16_sdwa v7, v15, s1 dst_sel:DWORD dst_unused:UNUSED_PAD src0_sel:BYTE_0 src1_sel:DWORD
	v_mul_lo_u16_sdwa v8, v6, s1 dst_sel:DWORD dst_unused:UNUSED_PAD src0_sel:BYTE_0 src1_sel:DWORD
	v_lshrrev_b16_e32 v12, 9, v7
	v_lshrrev_b16_e32 v25, 9, v8
	v_mul_lo_u16_e32 v7, 3, v12
	v_mul_lo_u16_e32 v10, 3, v25
	v_sub_u16_e32 v22, v15, v7
	v_mov_b32_e32 v13, 3
	v_sub_u16_e32 v28, v6, v10
	v_lshlrev_b32_sdwa v7, v13, v22 dst_sel:DWORD dst_unused:UNUSED_PAD src0_sel:DWORD src1_sel:BYTE_0
	v_lshlrev_b32_sdwa v10, v13, v28 dst_sel:DWORD dst_unused:UNUSED_PAD src0_sel:DWORD src1_sel:BYTE_0
	v_mul_lo_u16_sdwa v16, v9, s1 dst_sel:DWORD dst_unused:UNUSED_PAD src0_sel:BYTE_0 src1_sel:DWORD
	s_load_dwordx2 s[4:5], s[4:5], 0x0
	s_waitcnt lgkmcnt(0)
	s_barrier
	global_load_dwordx2 v[7:8], v7, s[12:13]
	v_lshrrev_b16_e32 v29, 9, v16
	global_load_dwordx2 v[10:11], v10, s[12:13]
	v_mul_lo_u16_e32 v16, 3, v29
	v_sub_u16_e32 v30, v9, v16
	v_lshlrev_b32_sdwa v13, v13, v30 dst_sel:DWORD dst_unused:UNUSED_PAD src0_sel:DWORD src1_sel:BYTE_0
	global_load_dwordx2 v[16:17], v13, s[12:13]
	v_lshlrev_b32_e32 v18, 3, v15
	v_sub_u32_e32 v27, v5, v18
	v_lshlrev_b32_e32 v20, 3, v6
	ds_read2_b32 v[5:6], v27 offset0:33 offset1:44
	ds_read2_b32 v[18:19], v27 offset0:55 offset1:66
	v_lshl_add_u32 v13, v15, 2, v0
	v_sub_u32_e32 v0, v21, v20
	ds_read2_b32 v[20:21], v27 offset0:77 offset1:88
	v_lshlrev_b32_e32 v9, 3, v9
	v_sub_u32_e32 v9, v14, v9
	s_waitcnt lgkmcnt(2)
	v_lshrrev_b32_e32 v14, 16, v5
	v_lshrrev_b32_e32 v26, 16, v6
	s_waitcnt lgkmcnt(1)
	v_lshrrev_b32_e32 v23, 16, v19
	s_mov_b32 s1, 0xbaee
	v_mad_u32_u24 v12, v12, 36, 0
	s_waitcnt vmcnt(2)
	v_mul_f16_sdwa v31, v7, v14 dst_sel:DWORD dst_unused:UNUSED_PAD src0_sel:WORD_1 src1_sel:DWORD
	v_mul_f16_sdwa v32, v7, v5 dst_sel:DWORD dst_unused:UNUSED_PAD src0_sel:WORD_1 src1_sel:DWORD
	s_waitcnt vmcnt(1)
	v_mul_f16_sdwa v35, v10, v26 dst_sel:DWORD dst_unused:UNUSED_PAD src0_sel:WORD_1 src1_sel:DWORD
	v_mul_f16_sdwa v36, v10, v6 dst_sel:DWORD dst_unused:UNUSED_PAD src0_sel:WORD_1 src1_sel:DWORD
	v_fma_f16 v14, v7, v14, -v32
	v_fma_f16 v31, v7, v5, v31
	v_fma_f16 v32, v10, v6, v35
	s_waitcnt lgkmcnt(0)
	v_lshrrev_b32_e32 v5, 16, v20
	v_mul_f16_sdwa v6, v11, v20 dst_sel:DWORD dst_unused:UNUSED_PAD src0_sel:WORD_1 src1_sel:DWORD
	v_fma_f16 v10, v10, v26, -v36
	v_fma_f16 v26, v11, v5, -v6
	v_mul_f16_sdwa v5, v11, v5 dst_sel:DWORD dst_unused:UNUSED_PAD src0_sel:WORD_1 src1_sel:DWORD
	v_fma_f16 v11, v11, v20, v5
	v_lshrrev_b32_e32 v5, 16, v18
	s_waitcnt vmcnt(0)
	v_mul_f16_sdwa v6, v16, v5 dst_sel:DWORD dst_unused:UNUSED_PAD src0_sel:WORD_1 src1_sel:DWORD
	v_mul_f16_sdwa v33, v8, v19 dst_sel:DWORD dst_unused:UNUSED_PAD src0_sel:WORD_1 src1_sel:DWORD
	v_fma_f16 v20, v16, v18, v6
	v_mul_f16_sdwa v6, v16, v18 dst_sel:DWORD dst_unused:UNUSED_PAD src0_sel:WORD_1 src1_sel:DWORD
	v_lshrrev_b32_e32 v7, 16, v21
	v_mul_f16_sdwa v34, v8, v23 dst_sel:DWORD dst_unused:UNUSED_PAD src0_sel:WORD_1 src1_sel:DWORD
	v_fma_f16 v23, v8, v23, -v33
	v_fma_f16 v33, v16, v5, -v6
	v_mul_f16_sdwa v5, v7, v17 dst_sel:DWORD dst_unused:UNUSED_PAD src0_sel:DWORD src1_sel:WORD_1
	v_fma_f16 v19, v8, v19, v34
	v_fma_f16 v34, v21, v17, v5
	v_mul_f16_sdwa v5, v21, v17 dst_sel:DWORD dst_unused:UNUSED_PAD src0_sel:DWORD src1_sel:WORD_1
	ds_read_b32 v18, v13
	ds_read_b32 v21, v0
	;; [unrolled: 1-line block ×3, first 2 shown]
	v_add_f16_e32 v0, v31, v19
	v_sub_f16_e32 v6, v14, v23
	s_waitcnt lgkmcnt(2)
	v_fma_f16 v0, v0, -0.5, v18
	v_fma_f16 v36, v7, v17, -v5
	v_fma_f16 v5, v6, s1, v0
	v_fma_f16 v6, v6, s0, v0
	v_add_f16_e32 v0, v20, v34
	s_waitcnt lgkmcnt(0)
	v_fma_f16 v0, v0, -0.5, v35
	v_sub_f16_e32 v8, v33, v36
	v_fma_f16 v7, v8, s1, v0
	v_fma_f16 v8, v8, s0, v0
	v_lshrrev_b32_e32 v0, 16, v18
	v_add_f16_e32 v9, v0, v14
	v_add_f16_e32 v16, v9, v23
	;; [unrolled: 1-line block ×3, first 2 shown]
	v_fma_f16 v9, v9, -0.5, v0
	v_add_f16_e32 v0, v18, v31
	v_sub_f16_e32 v14, v31, v19
	v_mov_b32_e32 v31, 2
	v_lshlrev_b32_sdwa v17, v31, v22 dst_sel:DWORD dst_unused:UNUSED_PAD src0_sel:DWORD src1_sel:BYTE_0
	v_add_f16_e32 v0, v0, v19
	v_add3_u32 v12, v12, v17, v24
	v_fma_f16 v17, v14, s0, v9
	v_pack_b32_f16 v18, v0, v16
	v_pack_b32_f16 v19, v5, v17
	s_barrier
	ds_write2_b32 v12, v18, v19 offset1:3
	v_fma_f16 v18, v14, s1, v9
	v_pack_b32_f16 v9, v6, v18
	ds_write_b32 v12, v9 offset:24
	v_lshrrev_b32_e32 v9, 16, v21
	v_add_f16_e32 v12, v9, v10
	v_sub_f16_e32 v14, v10, v26
	v_add_f16_e32 v10, v10, v26
	v_fma_f16 v9, v10, -0.5, v9
	v_add_f16_e32 v10, v32, v11
	v_add_f16_e32 v19, v12, v26
	v_fma_f16 v10, v10, -0.5, v21
	v_add_f16_e32 v12, v21, v32
	v_sub_f16_e32 v21, v32, v11
	v_fma_f16 v22, v21, s0, v9
	v_fma_f16 v21, v21, s1, v9
	v_add_f16_e32 v11, v12, v11
	v_fma_f16 v12, v14, s1, v10
	v_fma_f16 v9, v14, s0, v10
	v_lshrrev_b32_e32 v14, 16, v35
	v_add_f16_e32 v26, v33, v36
	v_add_f16_e32 v10, v35, v20
	;; [unrolled: 1-line block ×3, first 2 shown]
	v_fma_f16 v14, v26, -0.5, v14
	v_sub_f16_e32 v20, v20, v34
	v_fma_f16 v26, v20, s0, v14
	v_fma_f16 v20, v20, s1, v14
	v_mad_u32_u24 v14, v25, 36, 0
	v_lshlrev_b32_sdwa v25, v31, v28 dst_sel:DWORD dst_unused:UNUSED_PAD src0_sel:DWORD src1_sel:BYTE_0
	v_add3_u32 v14, v14, v25, v24
	v_pack_b32_f16 v25, v11, v19
	v_pack_b32_f16 v28, v12, v22
	ds_write2_b32 v14, v25, v28 offset1:3
	v_pack_b32_f16 v25, v9, v21
	v_add_f16_e32 v10, v10, v34
	v_add_f16_e32 v23, v23, v36
	ds_write_b32 v14, v25 offset:24
	v_mad_u32_u24 v14, v29, 36, 0
	v_lshlrev_b32_sdwa v25, v31, v30 dst_sel:DWORD dst_unused:UNUSED_PAD src0_sel:DWORD src1_sel:BYTE_0
	v_add3_u32 v14, v14, v25, v24
	v_pack_b32_f16 v24, v10, v23
	v_pack_b32_f16 v25, v7, v26
	ds_write2_b32 v14, v24, v25 offset1:3
	v_pack_b32_f16 v24, v8, v20
	v_cmp_gt_u32_e64 s[0:1], 9, v15
	ds_write_b32 v14, v24 offset:24
	s_waitcnt lgkmcnt(0)
	s_barrier
	s_waitcnt lgkmcnt(0)
                                        ; implicit-def: $vgpr25
                                        ; implicit-def: $vgpr14
                                        ; implicit-def: $vgpr24
	s_and_saveexec_b64 s[2:3], s[0:1]
	s_cbranch_execz .LBB0_14
; %bb.13:
	ds_read_b32 v0, v13
	ds_read2_b32 v[5:6], v27 offset0:9 offset1:18
	ds_read2_b32 v[7:8], v27 offset0:63 offset1:72
	;; [unrolled: 1-line block ×5, first 2 shown]
	s_waitcnt lgkmcnt(5)
	v_lshrrev_b32_e32 v16, 16, v0
	s_waitcnt lgkmcnt(3)
	v_lshrrev_b32_e32 v20, 16, v8
	;; [unrolled: 2-line block ×3, first 2 shown]
	v_lshrrev_b32_e32 v25, 16, v14
	v_lshrrev_b32_e32 v17, 16, v5
	;; [unrolled: 1-line block ×3, first 2 shown]
	s_waitcnt lgkmcnt(1)
	v_lshrrev_b32_e32 v19, 16, v11
	v_lshrrev_b32_e32 v22, 16, v12
	s_waitcnt lgkmcnt(0)
	v_lshrrev_b32_e32 v21, 16, v9
	v_lshrrev_b32_e32 v23, 16, v10
	;; [unrolled: 1-line block ×3, first 2 shown]
.LBB0_14:
	s_or_b64 exec, exec, s[2:3]
	v_cmp_gt_u32_e64 s[2:3], 9, v15
	s_and_b64 s[2:3], vcc, s[2:3]
	s_and_saveexec_b64 s[6:7], s[2:3]
	s_cbranch_execz .LBB0_16
; %bb.15:
	v_add_u32_e32 v27, -9, v15
	v_cndmask_b32_e64 v27, v27, v15, s[0:1]
	v_mul_i32_i24_e32 v27, 10, v27
	v_mov_b32_e32 v28, 0
	v_lshlrev_b64 v[27:28], 2, v[27:28]
	v_mov_b32_e32 v29, s13
	v_add_co_u32_e32 v35, vcc, s12, v27
	v_addc_co_u32_e32 v36, vcc, v29, v28, vcc
	global_load_dwordx4 v[27:30], v[35:36], off offset:24
	global_load_dwordx4 v[31:34], v[35:36], off offset:40
	global_load_dwordx2 v[37:38], v[35:36], off offset:56
	v_mul_lo_u32 v39, s5, v3
	v_mul_lo_u32 v40, s4, v4
	v_mad_u64_u32 v[3:4], s[0:1], s4, v3, 0
	v_mad_u64_u32 v[35:36], s[0:1], s20, v15, 0
	v_add3_u32 v4, v4, v40, v39
	v_lshlrev_b64 v[3:4], 2, v[3:4]
	v_mov_b32_e32 v41, s11
	v_add_co_u32_e32 v3, vcc, s10, v3
	v_addc_co_u32_e32 v4, vcc, v41, v4, vcc
	s_movk_i32 s1, 0x3482
	s_mov_b32 s0, 0xb853
	s_movk_i32 s11, 0x3a0c
	s_mov_b32 s2, 0xbb47
	;; [unrolled: 2-line block ×4, first 2 shown]
	s_mov_b32 s9, 0xbbeb
	s_movk_i32 s10, 0x3853
	s_mov_b32 s12, 0xb482
	s_movk_i32 s13, 0x3b47
	s_waitcnt vmcnt(2)
	v_mul_f16_sdwa v41, v5, v27 dst_sel:DWORD dst_unused:UNUSED_PAD src0_sel:DWORD src1_sel:WORD_1
	v_mul_f16_sdwa v42, v6, v28 dst_sel:DWORD dst_unused:UNUSED_PAD src0_sel:DWORD src1_sel:WORD_1
	s_waitcnt vmcnt(0)
	v_mad_u64_u32 v[39:40], s[4:5], s21, v15, v[36:37]
	v_mul_f16_sdwa v57, v14, v38 dst_sel:DWORD dst_unused:UNUSED_PAD src0_sel:DWORD src1_sel:WORD_1
	v_mul_f16_sdwa v55, v25, v38 dst_sel:DWORD dst_unused:UNUSED_PAD src0_sel:DWORD src1_sel:WORD_1
	v_mov_b32_e32 v36, v39
	v_mul_f16_sdwa v39, v17, v27 dst_sel:DWORD dst_unused:UNUSED_PAD src0_sel:DWORD src1_sel:WORD_1
	v_mul_f16_sdwa v58, v13, v37 dst_sel:DWORD dst_unused:UNUSED_PAD src0_sel:DWORD src1_sel:WORD_1
	v_fma_f16 v17, v17, v27, -v41
	v_fma_f16 v25, v25, v38, -v57
	v_mul_f16_sdwa v40, v18, v28 dst_sel:DWORD dst_unused:UNUSED_PAD src0_sel:DWORD src1_sel:WORD_1
	v_mul_f16_sdwa v43, v19, v29 dst_sel:DWORD dst_unused:UNUSED_PAD src0_sel:DWORD src1_sel:WORD_1
	;; [unrolled: 1-line block ×5, first 2 shown]
	v_fma_f16 v5, v5, v27, v39
	v_fma_f16 v18, v18, v28, -v42
	v_fma_f16 v14, v14, v38, v55
	v_fma_f16 v24, v24, v37, -v58
	v_add_f16_e32 v27, v25, v17
	v_mul_f16_sdwa v44, v22, v30 dst_sel:DWORD dst_unused:UNUSED_PAD src0_sel:DWORD src1_sel:WORD_1
	v_mul_f16_sdwa v46, v12, v30 dst_sel:DWORD dst_unused:UNUSED_PAD src0_sel:DWORD src1_sel:WORD_1
	;; [unrolled: 1-line block ×6, first 2 shown]
	v_fma_f16 v6, v6, v28, v40
	v_fma_f16 v11, v11, v29, v43
	v_fma_f16 v19, v19, v29, -v45
	v_fma_f16 v20, v20, v34, -v49
	v_fma_f16 v13, v13, v37, v56
	v_sub_f16_e32 v28, v5, v14
	v_add_f16_e32 v29, v24, v18
	v_mul_f16_e32 v38, 0xbbad, v27
	v_mul_f16_sdwa v48, v26, v33 dst_sel:DWORD dst_unused:UNUSED_PAD src0_sel:DWORD src1_sel:WORD_1
	v_mul_f16_sdwa v52, v23, v32 dst_sel:DWORD dst_unused:UNUSED_PAD src0_sel:DWORD src1_sel:WORD_1
	;; [unrolled: 1-line block ×3, first 2 shown]
	v_fma_f16 v12, v12, v30, v44
	v_fma_f16 v22, v22, v30, -v46
	v_fma_f16 v8, v8, v34, v47
	v_fma_f16 v9, v9, v31, v51
	v_fma_f16 v26, v26, v33, -v50
	v_fma_f16 v21, v21, v31, -v54
	v_sub_f16_e32 v30, v6, v13
	v_add_f16_e32 v31, v20, v19
	v_mul_f16_e32 v39, 0x3abb, v29
	v_fma_f16 v42, v28, s1, v38
	v_fma_f16 v7, v7, v33, v48
	;; [unrolled: 1-line block ×3, first 2 shown]
	v_fma_f16 v23, v23, v32, -v53
	v_sub_f16_e32 v32, v11, v8
	v_add_f16_e32 v33, v26, v22
	v_mul_f16_e32 v40, 0xb93d, v31
	v_fma_f16 v43, v30, s0, v39
	v_add_f16_e32 v42, v16, v42
	v_sub_f16_e32 v34, v12, v7
	v_add_f16_e32 v37, v23, v21
	v_mul_f16_e32 v41, 0x36a6, v33
	v_fma_f16 v44, v32, s11, v40
	v_add_f16_e32 v42, v42, v43
	v_fma_f16 v45, v34, s2, v41
	v_add_f16_e32 v42, v42, v44
	v_mul_f16_e32 v43, 0xb08e, v37
	v_sub_f16_e32 v44, v9, v10
	v_add_f16_e32 v42, v42, v45
	v_fma_f16 v45, v44, s3, v43
	v_sub_f16_e32 v46, v17, v25
	v_add_f16_e32 v42, v42, v45
	s_mov_b32 s4, 0xbbad
	v_add_f16_e32 v45, v14, v5
	v_mul_f16_e32 v47, 0xb482, v46
	v_sub_f16_e32 v50, v18, v24
	s_movk_i32 s5, 0x3abb
	v_fma_f16 v48, v45, s4, v47
	v_add_f16_e32 v49, v13, v6
	v_mul_f16_e32 v51, 0x3853, v50
	v_add_f16_e32 v48, v0, v48
	v_fma_f16 v52, v49, s5, v51
	v_sub_f16_e32 v53, v19, v20
	v_add_f16_e32 v48, v48, v52
	v_add_f16_e32 v52, v8, v11
	v_mul_f16_e32 v54, 0xba0c, v53
	v_fma_f16 v55, v52, s6, v54
	v_sub_f16_e32 v56, v22, v26
	v_add_f16_e32 v48, v48, v55
	v_add_f16_e32 v55, v7, v12
	v_mul_f16_e32 v57, 0x3b47, v56
	;; [unrolled: 5-line block ×3, first 2 shown]
	v_fma_f16 v61, v58, s8, v60
	v_add_f16_e32 v48, v48, v61
	v_mul_f16_e32 v61, 0xb93d, v27
	v_fma_f16 v62, v28, s11, v61
	v_mul_f16_e32 v63, 0xb08e, v29
	v_add_f16_e32 v62, v16, v62
	v_fma_f16 v64, v30, s9, v63
	v_add_f16_e32 v62, v62, v64
	v_mul_f16_e32 v64, 0x3abb, v31
	v_fma_f16 v65, v32, s10, v64
	v_add_f16_e32 v62, v62, v65
	v_mul_f16_e32 v65, 0xbbad, v33
	v_fma_f16 v66, v34, s1, v65
	v_add_f16_e32 v62, v62, v66
	v_mul_f16_e32 v66, 0x36a6, v37
	v_fma_f16 v67, v44, s2, v66
	v_add_f16_e32 v62, v62, v67
	v_mul_f16_e32 v67, 0xba0c, v46
	v_fma_f16 v68, v45, s6, v67
	v_mul_f16_e32 v69, 0x3beb, v50
	v_add_f16_e32 v68, v0, v68
	v_fma_f16 v70, v49, s8, v69
	v_add_f16_e32 v68, v68, v70
	v_mul_f16_e32 v70, 0xb853, v53
	v_fma_f16 v71, v52, s5, v70
	v_add_f16_e32 v68, v68, v71
	v_mul_f16_e32 v71, 0xb482, v56
	v_fma_f16 v72, v55, s4, v71
	v_add_f16_e32 v68, v68, v72
	v_mul_f16_e32 v72, 0x3b47, v59
	;; [unrolled: 15-line block ×5, first 2 shown]
	v_fma_f16 v91, v44, s0, v90
	v_add_f16_e32 v86, v86, v91
	v_mul_f16_e32 v91, 0xbb47, v46
	v_fma_f16 v92, v45, s7, v91
	v_mul_f16_e32 v93, 0xba0c, v50
	v_add_f16_e32 v92, v0, v92
	v_fma_f16 v94, v49, s6, v93
	v_add_f16_e32 v92, v92, v94
	v_mul_f16_e32 v94, 0x3482, v53
	v_fma_f16 v95, v52, s4, v94
	v_add_f16_e32 v92, v92, v95
	v_mul_f16_e32 v95, 0x3beb, v56
	v_add_f16_e32 v5, v0, v5
	v_fma_f16 v96, v55, s8, v95
	v_add_f16_e32 v5, v5, v6
	v_add_f16_e32 v92, v92, v96
	v_mul_f16_e32 v96, 0x3853, v59
	v_add_f16_e32 v5, v5, v11
	v_fma_f16 v97, v58, s5, v96
	v_mul_f16_e32 v27, 0x3abb, v27
	v_add_f16_e32 v5, v5, v12
	v_add_f16_e32 v92, v92, v97
	v_fma_f16 v97, v28, s10, v27
	v_mul_f16_e32 v29, 0x36a6, v29
	v_add_f16_e32 v5, v5, v9
	;; [unrolled: 4-line block ×4, first 2 shown]
	v_fma_f16 v7, v28, s12, v38
	v_add_f16_e32 v97, v97, v98
	v_fma_f16 v98, v34, s11, v33
	v_add_f16_e32 v5, v8, v5
	v_add_f16_e32 v7, v16, v7
	v_fma_f16 v8, v30, s10, v39
	s_mov_b32 s11, 0xba0c
	v_add_f16_e32 v7, v7, v8
	v_fma_f16 v8, v32, s11, v40
	v_add_f16_e32 v7, v7, v8
	v_fma_f16 v8, v34, s13, v41
	;; [unrolled: 2-line block ×3, first 2 shown]
	v_add_f16_e32 v7, v7, v8
	v_fma_f16 v8, v45, s4, -v47
	v_add_f16_e32 v8, v0, v8
	v_fma_f16 v9, v49, s5, -v51
	;; [unrolled: 2-line block ×5, first 2 shown]
	v_add_f16_e32 v8, v8, v9
	v_fma_f16 v9, v28, s11, v61
	v_add_f16_e32 v9, v16, v9
	v_fma_f16 v10, v30, s3, v63
	;; [unrolled: 2-line block ×5, first 2 shown]
	v_add_f16_e32 v9, v9, v10
	v_fma_f16 v10, v45, s6, -v67
	v_add_f16_e32 v10, v0, v10
	v_fma_f16 v11, v49, s8, -v69
	;; [unrolled: 2-line block ×5, first 2 shown]
	v_add_f16_e32 v10, v10, v11
	v_fma_f16 v11, v28, s9, v73
	v_add_f16_e32 v11, v16, v11
	v_fma_f16 v12, v30, s1, v75
	;; [unrolled: 2-line block ×5, first 2 shown]
	v_add_f16_e32 v11, v11, v12
	v_fma_f16 v12, v45, s8, -v79
	v_add_f16_e32 v5, v13, v5
	v_add_f16_e32 v12, v0, v12
	v_fma_f16 v13, v49, s4, -v81
	v_add_f16_e32 v12, v12, v13
	v_fma_f16 v13, v52, s7, -v82
	;; [unrolled: 2-line block ×4, first 2 shown]
	v_add_f16_e32 v12, v12, v13
	v_fma_f16 v13, v28, s2, v85
	v_add_f16_e32 v5, v14, v5
	v_add_f16_e32 v13, v16, v13
	v_fma_f16 v14, v30, s11, v87
	v_add_f16_e32 v13, v13, v14
	v_fma_f16 v14, v32, s1, v88
	;; [unrolled: 2-line block ×4, first 2 shown]
	v_add_f16_e32 v13, v13, v14
	v_fma_f16 v14, v45, s7, -v91
	v_add_f16_e32 v6, v16, v17
	v_add_f16_e32 v14, v0, v14
	v_fma_f16 v17, v49, s6, -v93
	v_add_f16_e32 v14, v14, v17
	v_fma_f16 v17, v52, s4, -v94
	;; [unrolled: 2-line block ×4, first 2 shown]
	v_add_f16_e32 v14, v14, v17
	v_fma_f16 v17, v28, s0, v27
	v_add_f16_e32 v16, v16, v17
	v_fma_f16 v17, v30, s2, v29
	;; [unrolled: 2-line block ×3, first 2 shown]
	v_mul_f16_e32 v37, 0xbbad, v37
	v_add_f16_e32 v16, v16, v17
	v_fma_f16 v17, v34, s11, v33
	v_add_f16_e32 v97, v97, v98
	v_fma_f16 v98, v44, s1, v37
	v_mul_f16_e32 v46, 0xb853, v46
	v_add_f16_e32 v16, v16, v17
	v_fma_f16 v17, v44, s12, v37
	v_add_f16_e32 v97, v97, v98
	v_fma_f16 v98, v45, s5, v46
	v_mul_f16_e32 v50, 0xbb47, v50
	v_add_f16_e32 v16, v16, v17
	v_fma_f16 v17, v45, s5, -v46
	v_add_f16_e32 v98, v0, v98
	v_mul_f16_e32 v53, 0xbbeb, v53
	v_add_f16_e32 v0, v0, v17
	v_fma_f16 v17, v49, s7, -v50
	v_mul_f16_e32 v56, 0xba0c, v56
	v_add_f16_e32 v6, v6, v18
	v_add_f16_e32 v0, v0, v17
	v_fma_f16 v17, v52, s8, -v53
	v_add_f16_e32 v6, v6, v19
	v_add_f16_e32 v0, v0, v17
	v_fma_f16 v17, v55, s6, -v56
	v_add_f16_e32 v6, v6, v22
	v_add_f16_e32 v17, v0, v17
	v_lshlrev_b64 v[0:1], 2, v[1:2]
	v_add_f16_e32 v6, v6, v21
	v_add_f16_e32 v6, v23, v6
	v_add_co_u32_e32 v18, vcc, v3, v0
	v_add_f16_e32 v6, v26, v6
	v_addc_co_u32_e32 v19, vcc, v4, v1, vcc
	v_add_u32_e32 v4, 9, v15
	v_add_f16_e32 v6, v20, v6
	v_lshlrev_b64 v[0:1], 2, v[35:36]
	v_mad_u64_u32 v[2:3], s[0:1], s20, v4, 0
	v_add_f16_e32 v6, v24, v6
	v_add_f16_e32 v6, v25, v6
	v_add_co_u32_e32 v0, vcc, v18, v0
	v_addc_co_u32_e32 v1, vcc, v19, v1, vcc
	v_pack_b32_f16 v5, v5, v6
	global_store_dword v[0:1], v5, off
	v_mov_b32_e32 v0, v3
	v_mad_u64_u32 v[0:1], s[0:1], s21, v4, v[0:1]
	v_add_u32_e32 v6, 18, v15
	v_mad_u64_u32 v[4:5], s[0:1], s20, v6, 0
	v_mov_b32_e32 v3, v0
	v_fma_f16 v99, v49, s7, v50
	v_lshlrev_b64 v[0:1], 2, v[2:3]
	v_mov_b32_e32 v2, v5
	v_add_f16_e32 v98, v98, v99
	v_fma_f16 v99, v52, s8, v53
	v_mad_u64_u32 v[2:3], s[0:1], s21, v6, v[2:3]
	v_add_f16_e32 v98, v98, v99
	v_fma_f16 v99, v55, s6, v56
	v_mul_f16_e32 v59, 0xb482, v59
	v_add_f16_e32 v98, v98, v99
	v_fma_f16 v99, v58, s4, v59
	v_add_f16_e32 v98, v98, v99
	v_add_co_u32_e32 v0, vcc, v18, v0
	v_addc_co_u32_e32 v1, vcc, v19, v1, vcc
	v_pack_b32_f16 v3, v98, v97
	v_mov_b32_e32 v5, v2
	global_store_dword v[0:1], v3, off
	v_lshlrev_b64 v[0:1], 2, v[4:5]
	v_add_u32_e32 v4, 27, v15
	v_mad_u64_u32 v[2:3], s[0:1], s20, v4, 0
	v_fma_f16 v20, v58, s4, -v59
	v_add_f16_e32 v17, v17, v20
	v_mad_u64_u32 v[3:4], s[0:1], s21, v4, v[3:4]
	v_add_u32_e32 v20, 36, v15
	v_mad_u64_u32 v[4:5], s[0:1], s20, v20, 0
	v_add_co_u32_e32 v0, vcc, v18, v0
	v_addc_co_u32_e32 v1, vcc, v19, v1, vcc
	v_pack_b32_f16 v6, v92, v86
	global_store_dword v[0:1], v6, off
	v_lshlrev_b64 v[0:1], 2, v[2:3]
	v_mov_b32_e32 v2, v5
	v_mad_u64_u32 v[2:3], s[0:1], s21, v20, v[2:3]
	v_add_co_u32_e32 v0, vcc, v18, v0
	v_addc_co_u32_e32 v1, vcc, v19, v1, vcc
	v_pack_b32_f16 v3, v80, v74
	v_mov_b32_e32 v5, v2
	global_store_dword v[0:1], v3, off
	v_lshlrev_b64 v[0:1], 2, v[4:5]
	v_add_u32_e32 v4, 45, v15
	v_mad_u64_u32 v[2:3], s[0:1], s20, v4, 0
	v_add_u32_e32 v20, 54, v15
	v_add_co_u32_e32 v0, vcc, v18, v0
	v_mad_u64_u32 v[3:4], s[0:1], s21, v4, v[3:4]
	v_mad_u64_u32 v[4:5], s[0:1], s20, v20, 0
	v_addc_co_u32_e32 v1, vcc, v19, v1, vcc
	v_pack_b32_f16 v6, v68, v62
	global_store_dword v[0:1], v6, off
	v_lshlrev_b64 v[0:1], 2, v[2:3]
	v_mov_b32_e32 v2, v5
	v_mad_u64_u32 v[2:3], s[0:1], s21, v20, v[2:3]
	v_add_co_u32_e32 v0, vcc, v18, v0
	v_addc_co_u32_e32 v1, vcc, v19, v1, vcc
	v_pack_b32_f16 v3, v48, v42
	v_mov_b32_e32 v5, v2
	global_store_dword v[0:1], v3, off
	v_lshlrev_b64 v[0:1], 2, v[4:5]
	v_add_u32_e32 v4, 63, v15
	v_mad_u64_u32 v[2:3], s[0:1], s20, v4, 0
	v_pack_b32_f16 v6, v8, v7
	v_add_u32_e32 v7, 0x48, v15
	v_mad_u64_u32 v[3:4], s[0:1], s21, v4, v[3:4]
	v_mad_u64_u32 v[4:5], s[0:1], s20, v7, 0
	v_add_co_u32_e32 v0, vcc, v18, v0
	v_addc_co_u32_e32 v1, vcc, v19, v1, vcc
	global_store_dword v[0:1], v6, off
	v_lshlrev_b64 v[0:1], 2, v[2:3]
	v_mov_b32_e32 v2, v5
	v_mad_u64_u32 v[2:3], s[0:1], s21, v7, v[2:3]
	v_add_co_u32_e32 v0, vcc, v18, v0
	v_addc_co_u32_e32 v1, vcc, v19, v1, vcc
	v_pack_b32_f16 v3, v10, v9
	v_mov_b32_e32 v5, v2
	global_store_dword v[0:1], v3, off
	v_lshlrev_b64 v[0:1], 2, v[4:5]
	v_add_u32_e32 v4, 0x51, v15
	v_mad_u64_u32 v[2:3], s[0:1], s20, v4, 0
	v_add_u32_e32 v7, 0x5a, v15
	v_add_co_u32_e32 v0, vcc, v18, v0
	v_mad_u64_u32 v[3:4], s[0:1], s21, v4, v[3:4]
	v_mad_u64_u32 v[4:5], s[0:1], s20, v7, 0
	v_addc_co_u32_e32 v1, vcc, v19, v1, vcc
	v_pack_b32_f16 v6, v12, v11
	global_store_dword v[0:1], v6, off
	v_lshlrev_b64 v[0:1], 2, v[2:3]
	v_mov_b32_e32 v2, v5
	v_mad_u64_u32 v[2:3], s[0:1], s21, v7, v[2:3]
	v_add_co_u32_e32 v0, vcc, v18, v0
	v_addc_co_u32_e32 v1, vcc, v19, v1, vcc
	v_pack_b32_f16 v3, v14, v13
	v_mov_b32_e32 v5, v2
	global_store_dword v[0:1], v3, off
	v_lshlrev_b64 v[0:1], 2, v[4:5]
	v_pack_b32_f16 v2, v17, v16
	v_add_co_u32_e32 v0, vcc, v18, v0
	v_addc_co_u32_e32 v1, vcc, v19, v1, vcc
	global_store_dword v[0:1], v2, off
.LBB0_16:
	s_endpgm
	.section	.rodata,"a",@progbits
	.p2align	6, 0x0
	.amdhsa_kernel fft_rtc_back_len99_factors_3_3_11_wgs_220_tpt_11_half_op_CI_CI_sbrr_dirReg
		.amdhsa_group_segment_fixed_size 0
		.amdhsa_private_segment_fixed_size 0
		.amdhsa_kernarg_size 104
		.amdhsa_user_sgpr_count 6
		.amdhsa_user_sgpr_private_segment_buffer 1
		.amdhsa_user_sgpr_dispatch_ptr 0
		.amdhsa_user_sgpr_queue_ptr 0
		.amdhsa_user_sgpr_kernarg_segment_ptr 1
		.amdhsa_user_sgpr_dispatch_id 0
		.amdhsa_user_sgpr_flat_scratch_init 0
		.amdhsa_user_sgpr_private_segment_size 0
		.amdhsa_uses_dynamic_stack 0
		.amdhsa_system_sgpr_private_segment_wavefront_offset 0
		.amdhsa_system_sgpr_workgroup_id_x 1
		.amdhsa_system_sgpr_workgroup_id_y 0
		.amdhsa_system_sgpr_workgroup_id_z 0
		.amdhsa_system_sgpr_workgroup_info 0
		.amdhsa_system_vgpr_workitem_id 0
		.amdhsa_next_free_vgpr 100
		.amdhsa_next_free_sgpr 32
		.amdhsa_reserve_vcc 1
		.amdhsa_reserve_flat_scratch 0
		.amdhsa_float_round_mode_32 0
		.amdhsa_float_round_mode_16_64 0
		.amdhsa_float_denorm_mode_32 3
		.amdhsa_float_denorm_mode_16_64 3
		.amdhsa_dx10_clamp 1
		.amdhsa_ieee_mode 1
		.amdhsa_fp16_overflow 0
		.amdhsa_exception_fp_ieee_invalid_op 0
		.amdhsa_exception_fp_denorm_src 0
		.amdhsa_exception_fp_ieee_div_zero 0
		.amdhsa_exception_fp_ieee_overflow 0
		.amdhsa_exception_fp_ieee_underflow 0
		.amdhsa_exception_fp_ieee_inexact 0
		.amdhsa_exception_int_div_zero 0
	.end_amdhsa_kernel
	.text
.Lfunc_end0:
	.size	fft_rtc_back_len99_factors_3_3_11_wgs_220_tpt_11_half_op_CI_CI_sbrr_dirReg, .Lfunc_end0-fft_rtc_back_len99_factors_3_3_11_wgs_220_tpt_11_half_op_CI_CI_sbrr_dirReg
                                        ; -- End function
	.section	.AMDGPU.csdata,"",@progbits
; Kernel info:
; codeLenInByte = 6300
; NumSgprs: 36
; NumVgprs: 100
; ScratchSize: 0
; MemoryBound: 0
; FloatMode: 240
; IeeeMode: 1
; LDSByteSize: 0 bytes/workgroup (compile time only)
; SGPRBlocks: 4
; VGPRBlocks: 24
; NumSGPRsForWavesPerEU: 36
; NumVGPRsForWavesPerEU: 100
; Occupancy: 2
; WaveLimiterHint : 1
; COMPUTE_PGM_RSRC2:SCRATCH_EN: 0
; COMPUTE_PGM_RSRC2:USER_SGPR: 6
; COMPUTE_PGM_RSRC2:TRAP_HANDLER: 0
; COMPUTE_PGM_RSRC2:TGID_X_EN: 1
; COMPUTE_PGM_RSRC2:TGID_Y_EN: 0
; COMPUTE_PGM_RSRC2:TGID_Z_EN: 0
; COMPUTE_PGM_RSRC2:TIDIG_COMP_CNT: 0
	.type	__hip_cuid_1600dc8e7b51e9a9,@object ; @__hip_cuid_1600dc8e7b51e9a9
	.section	.bss,"aw",@nobits
	.globl	__hip_cuid_1600dc8e7b51e9a9
__hip_cuid_1600dc8e7b51e9a9:
	.byte	0                               ; 0x0
	.size	__hip_cuid_1600dc8e7b51e9a9, 1

	.ident	"AMD clang version 19.0.0git (https://github.com/RadeonOpenCompute/llvm-project roc-6.4.0 25133 c7fe45cf4b819c5991fe208aaa96edf142730f1d)"
	.section	".note.GNU-stack","",@progbits
	.addrsig
	.addrsig_sym __hip_cuid_1600dc8e7b51e9a9
	.amdgpu_metadata
---
amdhsa.kernels:
  - .args:
      - .actual_access:  read_only
        .address_space:  global
        .offset:         0
        .size:           8
        .value_kind:     global_buffer
      - .offset:         8
        .size:           8
        .value_kind:     by_value
      - .actual_access:  read_only
        .address_space:  global
        .offset:         16
        .size:           8
        .value_kind:     global_buffer
      - .actual_access:  read_only
        .address_space:  global
        .offset:         24
        .size:           8
        .value_kind:     global_buffer
      - .actual_access:  read_only
        .address_space:  global
        .offset:         32
        .size:           8
        .value_kind:     global_buffer
      - .offset:         40
        .size:           8
        .value_kind:     by_value
      - .actual_access:  read_only
        .address_space:  global
        .offset:         48
        .size:           8
        .value_kind:     global_buffer
      - .actual_access:  read_only
        .address_space:  global
        .offset:         56
        .size:           8
        .value_kind:     global_buffer
      - .offset:         64
        .size:           4
        .value_kind:     by_value
      - .actual_access:  read_only
        .address_space:  global
        .offset:         72
        .size:           8
        .value_kind:     global_buffer
      - .actual_access:  read_only
        .address_space:  global
        .offset:         80
        .size:           8
        .value_kind:     global_buffer
      - .actual_access:  read_only
        .address_space:  global
        .offset:         88
        .size:           8
        .value_kind:     global_buffer
      - .actual_access:  write_only
        .address_space:  global
        .offset:         96
        .size:           8
        .value_kind:     global_buffer
    .group_segment_fixed_size: 0
    .kernarg_segment_align: 8
    .kernarg_segment_size: 104
    .language:       OpenCL C
    .language_version:
      - 2
      - 0
    .max_flat_workgroup_size: 220
    .name:           fft_rtc_back_len99_factors_3_3_11_wgs_220_tpt_11_half_op_CI_CI_sbrr_dirReg
    .private_segment_fixed_size: 0
    .sgpr_count:     36
    .sgpr_spill_count: 0
    .symbol:         fft_rtc_back_len99_factors_3_3_11_wgs_220_tpt_11_half_op_CI_CI_sbrr_dirReg.kd
    .uniform_work_group_size: 1
    .uses_dynamic_stack: false
    .vgpr_count:     100
    .vgpr_spill_count: 0
    .wavefront_size: 64
amdhsa.target:   amdgcn-amd-amdhsa--gfx906
amdhsa.version:
  - 1
  - 2
...

	.end_amdgpu_metadata
